;; amdgpu-corpus repo=ROCm/rocFFT kind=compiled arch=gfx906 opt=O3
	.text
	.amdgcn_target "amdgcn-amd-amdhsa--gfx906"
	.amdhsa_code_object_version 6
	.protected	bluestein_single_fwd_len154_dim1_sp_op_CI_CI ; -- Begin function bluestein_single_fwd_len154_dim1_sp_op_CI_CI
	.globl	bluestein_single_fwd_len154_dim1_sp_op_CI_CI
	.p2align	8
	.type	bluestein_single_fwd_len154_dim1_sp_op_CI_CI,@function
bluestein_single_fwd_len154_dim1_sp_op_CI_CI: ; @bluestein_single_fwd_len154_dim1_sp_op_CI_CI
; %bb.0:
	v_mul_u32_u24_e32 v1, 0xba3, v0
	s_load_dwordx4 s[0:3], s[4:5], 0x28
	v_lshrrev_b32_e32 v1, 16, v1
	v_mad_u64_u32 v[36:37], s[6:7], s6, 5, v[1:2]
	v_mov_b32_e32 v37, 0
	s_waitcnt lgkmcnt(0)
	v_cmp_gt_u64_e32 vcc, s[0:1], v[36:37]
	s_and_saveexec_b64 s[0:1], vcc
	s_cbranch_execz .LBB0_23
; %bb.1:
	s_mov_b32 s0, 0xcccccccd
	v_mul_hi_u32 v2, v36, s0
	v_mul_lo_u16_e32 v1, 22, v1
	s_load_dwordx2 s[12:13], s[4:5], 0x0
	s_load_dwordx2 s[14:15], s[4:5], 0x38
	v_sub_u16_e32 v47, v0, v1
	v_lshrrev_b32_e32 v0, 2, v2
	v_lshl_add_u32 v0, v0, 2, v0
	v_sub_u32_e32 v0, v36, v0
	v_mul_u32_u24_e32 v49, 0x9a, v0
	v_cmp_gt_u16_e64 s[0:1], 14, v47
	v_lshlrev_b32_e32 v48, 3, v47
	v_lshlrev_b32_e32 v50, 3, v49
	s_and_saveexec_b64 s[6:7], s[0:1]
	s_cbranch_execz .LBB0_3
; %bb.2:
	s_load_dwordx2 s[8:9], s[4:5], 0x18
	v_mov_b32_e32 v34, 0xe0
	s_waitcnt lgkmcnt(0)
	s_load_dwordx4 s[8:11], s[8:9], 0x0
	s_waitcnt lgkmcnt(0)
	v_mad_u64_u32 v[0:1], s[16:17], s10, v36, 0
	v_mad_u64_u32 v[2:3], s[16:17], s8, v47, 0
	;; [unrolled: 1-line block ×4, first 2 shown]
	v_mov_b32_e32 v1, v4
	v_lshlrev_b64 v[0:1], 3, v[0:1]
	v_mov_b32_e32 v3, v5
	v_mov_b32_e32 v6, s3
	v_lshlrev_b64 v[2:3], 3, v[2:3]
	v_add_co_u32_e32 v28, vcc, s2, v0
	v_addc_co_u32_e32 v29, vcc, v6, v1, vcc
	v_add_co_u32_e32 v0, vcc, v28, v2
	s_mul_i32 s2, s9, 0x70
	s_mul_hi_u32 s3, s8, 0x70
	v_addc_co_u32_e32 v1, vcc, v29, v3, vcc
	s_add_i32 s2, s3, s2
	s_mul_i32 s3, s8, 0x70
	v_mov_b32_e32 v3, s2
	v_add_co_u32_e32 v2, vcc, s3, v0
	v_addc_co_u32_e32 v3, vcc, v1, v3, vcc
	v_mov_b32_e32 v5, s2
	v_add_co_u32_e32 v4, vcc, s3, v2
	v_addc_co_u32_e32 v5, vcc, v3, v5, vcc
	global_load_dwordx2 v[6:7], v[0:1], off
	global_load_dwordx2 v[8:9], v[2:3], off
	;; [unrolled: 1-line block ×3, first 2 shown]
	global_load_dwordx2 v[12:13], v48, s[12:13]
	global_load_dwordx2 v[14:15], v48, s[12:13] offset:112
	global_load_dwordx2 v[16:17], v48, s[12:13] offset:224
	;; [unrolled: 1-line block ×7, first 2 shown]
	v_or_b32_e32 v2, 0x70, v47
	v_mad_u64_u32 v[0:1], s[10:11], s8, v2, 0
	v_mov_b32_e32 v3, s2
	v_mov_b32_e32 v30, s2
	v_mad_u64_u32 v[1:2], s[10:11], s9, v2, v[1:2]
	v_mov_b32_e32 v31, s2
	v_mov_b32_e32 v32, s2
	v_lshlrev_b64 v[0:1], 3, v[0:1]
	v_mov_b32_e32 v35, s2
	v_add_co_u32_e32 v0, vcc, v28, v0
	v_addc_co_u32_e32 v1, vcc, v29, v1, vcc
	v_add_co_u32_e32 v2, vcc, s3, v4
	v_addc_co_u32_e32 v3, vcc, v5, v3, vcc
	global_load_dwordx2 v[4:5], v[2:3], off
	v_add_co_u32_e32 v2, vcc, s3, v2
	v_addc_co_u32_e32 v3, vcc, v3, v30, vcc
	global_load_dwordx2 v[28:29], v[2:3], off
	;; [unrolled: 3-line block ×4, first 2 shown]
	v_add_co_u32_e32 v2, vcc, s3, v2
	v_addc_co_u32_e32 v3, vcc, v3, v35, vcc
	v_mad_u64_u32 v[34:35], s[10:11], s8, v34, v[2:3]
	s_mul_i32 s8, s9, 0xe0
	global_load_dwordx2 v[37:38], v[2:3], off
	global_load_dwordx2 v[39:40], v[0:1], off
	v_add_u32_e32 v35, s8, v35
	global_load_dwordx2 v[0:1], v48, s[12:13] offset:896
	global_load_dwordx2 v[2:3], v[34:35], off
	global_load_dwordx2 v[41:42], v48, s[12:13] offset:1008
	v_mov_b32_e32 v43, s2
	v_add_co_u32_e32 v34, vcc, s3, v34
	v_addc_co_u32_e32 v35, vcc, v35, v43, vcc
	global_load_dwordx2 v[43:44], v[34:35], off
	global_load_dwordx2 v[45:46], v48, s[12:13] offset:1120
	s_waitcnt vmcnt(18)
	v_mul_f32_e32 v34, v7, v13
	v_mul_f32_e32 v13, v6, v13
	v_fmac_f32_e32 v34, v6, v12
	s_waitcnt vmcnt(17)
	v_mul_f32_e32 v6, v9, v15
	v_fma_f32 v35, v7, v12, -v13
	v_mul_f32_e32 v7, v8, v15
	v_fmac_f32_e32 v6, v8, v14
	s_waitcnt vmcnt(16)
	v_mul_f32_e32 v8, v11, v17
	v_fma_f32 v7, v9, v14, -v7
	v_mul_f32_e32 v9, v10, v17
	v_fmac_f32_e32 v8, v10, v16
	v_lshl_add_u32 v10, v47, 3, v50
	v_fma_f32 v9, v11, v16, -v9
	ds_write_b64 v10, v[34:35]
	v_add_u32_e32 v10, v50, v48
	ds_write2_b64 v10, v[6:7], v[8:9] offset0:14 offset1:28
	s_waitcnt vmcnt(10)
	v_mul_f32_e32 v6, v5, v19
	v_fmac_f32_e32 v6, v4, v18
	v_mul_f32_e32 v4, v4, v19
	v_fma_f32 v7, v5, v18, -v4
	s_waitcnt vmcnt(9)
	v_mul_f32_e32 v4, v29, v21
	v_mul_f32_e32 v5, v28, v21
	v_fmac_f32_e32 v4, v28, v20
	v_fma_f32 v5, v29, v20, -v5
	ds_write2_b64 v10, v[6:7], v[4:5] offset0:42 offset1:56
	s_waitcnt vmcnt(8)
	v_mul_f32_e32 v4, v31, v23
	v_mul_f32_e32 v5, v30, v23
	v_fmac_f32_e32 v4, v30, v22
	v_fma_f32 v5, v31, v22, -v5
	s_waitcnt vmcnt(7)
	v_mul_f32_e32 v6, v33, v25
	v_mul_f32_e32 v7, v32, v25
	v_fmac_f32_e32 v6, v32, v24
	v_fma_f32 v7, v33, v24, -v7
	ds_write2_b64 v10, v[4:5], v[6:7] offset0:70 offset1:84
	s_waitcnt vmcnt(6)
	v_mul_f32_e32 v4, v38, v27
	s_waitcnt vmcnt(4)
	v_mul_f32_e32 v6, v40, v1
	v_mul_f32_e32 v1, v39, v1
	v_fmac_f32_e32 v6, v39, v0
	v_fma_f32 v7, v40, v0, -v1
	s_waitcnt vmcnt(2)
	v_mul_f32_e32 v0, v3, v42
	v_mul_f32_e32 v1, v2, v42
	;; [unrolled: 1-line block ×3, first 2 shown]
	v_fmac_f32_e32 v0, v2, v41
	v_fma_f32 v1, v3, v41, -v1
	s_waitcnt vmcnt(0)
	v_mul_f32_e32 v2, v44, v46
	v_mul_f32_e32 v3, v43, v46
	v_fmac_f32_e32 v4, v37, v26
	v_fma_f32 v5, v38, v26, -v5
	v_fmac_f32_e32 v2, v43, v45
	v_fma_f32 v3, v44, v45, -v3
	ds_write2_b64 v10, v[4:5], v[6:7] offset0:98 offset1:112
	ds_write2_b64 v10, v[0:1], v[2:3] offset0:126 offset1:140
.LBB0_3:
	s_or_b64 exec, exec, s[6:7]
	s_load_dwordx2 s[2:3], s[4:5], 0x20
	s_load_dwordx2 s[8:9], s[4:5], 0x8
	v_mov_b32_e32 v4, 0
	v_mov_b32_e32 v5, 0
	s_waitcnt lgkmcnt(0)
	s_barrier
	s_waitcnt lgkmcnt(0)
                                        ; implicit-def: $vgpr10
                                        ; implicit-def: $vgpr24
                                        ; implicit-def: $vgpr20
                                        ; implicit-def: $vgpr18
                                        ; implicit-def: $vgpr14
	s_and_saveexec_b64 s[4:5], s[0:1]
	s_cbranch_execz .LBB0_5
; %bb.4:
	v_lshl_add_u32 v0, v49, 3, v48
	ds_read2_b64 v[4:7], v0 offset1:14
	ds_read2_b64 v[12:15], v0 offset0:28 offset1:42
	ds_read2_b64 v[16:19], v0 offset0:56 offset1:70
	;; [unrolled: 1-line block ×4, first 2 shown]
	ds_read_b64 v[20:21], v0 offset:1120
.LBB0_5:
	s_or_b64 exec, exec, s[4:5]
	s_waitcnt lgkmcnt(0)
	v_sub_f32_e32 v43, v7, v21
	v_mul_f32_e32 v28, 0xbf0a6770, v43
	v_sub_f32_e32 v53, v13, v27
	v_add_f32_e32 v34, v20, v6
	v_sub_f32_e32 v39, v6, v20
	v_mov_b32_e32 v0, v28
	v_mul_f32_e32 v30, 0xbf68dda4, v53
	v_add_f32_e32 v52, v21, v7
	s_mov_b32 s7, 0x3f575c64
	v_mul_f32_e32 v29, 0xbf0a6770, v39
	v_fmac_f32_e32 v0, 0x3f575c64, v34
	v_add_f32_e32 v41, v26, v12
	v_sub_f32_e32 v44, v12, v26
	v_mov_b32_e32 v2, v30
	v_add_f32_e32 v0, v0, v4
	v_fma_f32 v1, v52, s7, -v29
	s_mov_b32 s6, 0x3ed4b147
	v_add_f32_e32 v59, v27, v13
	v_mul_f32_e32 v31, 0xbf68dda4, v44
	v_fmac_f32_e32 v2, 0x3ed4b147, v41
	v_sub_f32_e32 v65, v15, v25
	v_add_f32_e32 v1, v1, v5
	v_add_f32_e32 v0, v2, v0
	v_fma_f32 v2, v59, s6, -v31
	v_mul_f32_e32 v32, 0xbf7d64f0, v65
	v_add_f32_e32 v1, v2, v1
	v_add_f32_e32 v45, v24, v14
	v_sub_f32_e32 v55, v14, v24
	v_mov_b32_e32 v2, v32
	s_mov_b32 s10, 0xbe11bafb
	v_add_f32_e32 v71, v25, v15
	v_mul_f32_e32 v33, 0xbf7d64f0, v55
	v_fmac_f32_e32 v2, 0xbe11bafb, v45
	v_sub_f32_e32 v73, v17, v11
	v_add_f32_e32 v0, v2, v0
	v_fma_f32 v2, v71, s10, -v33
	v_mul_f32_e32 v35, 0xbf4178ce, v73
	v_add_f32_e32 v1, v2, v1
	v_add_f32_e32 v57, v10, v16
	v_mov_b32_e32 v2, v35
	v_sub_f32_e32 v68, v16, v10
	v_fmac_f32_e32 v2, 0xbf27a4f4, v57
	s_mov_b32 s11, 0xbf27a4f4
	v_add_f32_e32 v69, v11, v17
	v_mul_f32_e32 v40, 0xbf4178ce, v68
	v_sub_f32_e32 v80, v19, v9
	v_add_f32_e32 v0, v2, v0
	v_fma_f32 v2, v69, s11, -v40
	v_mul_f32_e32 v42, 0xbe903f40, v80
	v_add_f32_e32 v1, v2, v1
	v_add_f32_e32 v70, v8, v18
	v_mov_b32_e32 v2, v42
	v_sub_f32_e32 v79, v18, v8
	s_mov_b32 s16, 0xbf75a155
	v_fmac_f32_e32 v2, 0xbf75a155, v70
	v_add_f32_e32 v72, v9, v19
	v_mul_f32_e32 v46, 0xbe903f40, v79
	v_add_f32_e32 v37, v2, v0
	v_fma_f32 v0, v72, s16, -v46
	v_mul_f32_e32 v54, 0xbf68dda4, v43
	v_add_f32_e32 v38, v0, v1
	v_mov_b32_e32 v0, v54
	v_mul_f32_e32 v56, 0xbf4178ce, v53
	v_fmac_f32_e32 v0, 0x3ed4b147, v34
	v_mov_b32_e32 v1, v56
	v_add_f32_e32 v0, v0, v4
	v_fmac_f32_e32 v1, 0xbf27a4f4, v41
	v_mul_f32_e32 v61, 0xbf68dda4, v39
	v_add_f32_e32 v0, v1, v0
	v_fma_f32 v1, v52, s6, -v61
	v_mul_f32_e32 v62, 0xbf4178ce, v44
	v_add_f32_e32 v1, v1, v5
	v_fma_f32 v2, v59, s11, -v62
	v_mul_f32_e32 v58, 0x3e903f40, v65
	v_add_f32_e32 v1, v2, v1
	v_mov_b32_e32 v2, v58
	v_fmac_f32_e32 v2, 0xbf75a155, v45
	v_mul_f32_e32 v64, 0x3e903f40, v55
	v_add_f32_e32 v0, v2, v0
	v_fma_f32 v2, v71, s16, -v64
	v_mul_f32_e32 v60, 0x3f7d64f0, v73
	v_add_f32_e32 v1, v2, v1
	v_mov_b32_e32 v2, v60
	v_fmac_f32_e32 v2, 0xbe11bafb, v57
	;; [unrolled: 7-line block ×3, first 2 shown]
	v_mul_f32_e32 v67, 0x3f0a6770, v79
	v_mul_f32_e32 v74, 0xbf7d64f0, v43
	v_fma_f32 v3, v72, s7, -v67
	v_add_f32_e32 v2, v2, v0
	v_mov_b32_e32 v0, v74
	v_mul_f32_e32 v75, 0x3e903f40, v53
	v_add_f32_e32 v3, v3, v1
	v_fmac_f32_e32 v0, 0xbe11bafb, v34
	v_mov_b32_e32 v1, v75
	v_add_f32_e32 v0, v0, v4
	v_fmac_f32_e32 v1, 0xbf75a155, v41
	v_mul_f32_e32 v76, 0x3f68dda4, v65
	v_add_f32_e32 v0, v1, v0
	v_mov_b32_e32 v1, v76
	v_fmac_f32_e32 v1, 0x3ed4b147, v45
	v_mul_f32_e32 v77, 0xbf0a6770, v73
	v_add_f32_e32 v0, v1, v0
	v_mov_b32_e32 v1, v77
	v_fmac_f32_e32 v1, 0x3f575c64, v57
	v_mul_f32_e32 v78, 0xbf4178ce, v80
	v_add_f32_e32 v0, v1, v0
	v_mov_b32_e32 v1, v78
	v_fmac_f32_e32 v1, 0xbf27a4f4, v70
	v_mul_f32_e32 v81, 0xbf7d64f0, v39
	v_add_f32_e32 v0, v1, v0
	v_fma_f32 v1, v52, s10, -v81
	v_mul_f32_e32 v82, 0x3e903f40, v44
	v_add_f32_e32 v1, v1, v5
	v_fma_f32 v22, v59, s16, -v82
	;; [unrolled: 3-line block ×5, first 2 shown]
	v_mul_f32_e32 v86, 0xbf4178ce, v43
	v_add_f32_e32 v1, v22, v1
	v_mov_b32_e32 v22, v86
	v_mul_f32_e32 v87, 0x3f7d64f0, v53
	v_fmac_f32_e32 v22, 0xbf27a4f4, v34
	v_mov_b32_e32 v23, v87
	v_add_f32_e32 v22, v22, v4
	v_fmac_f32_e32 v23, 0xbe11bafb, v41
	v_mul_f32_e32 v90, 0xbf4178ce, v39
	v_add_f32_e32 v22, v23, v22
	v_fma_f32 v23, v52, s11, -v90
	v_mul_f32_e32 v91, 0x3f7d64f0, v44
	v_add_f32_e32 v23, v23, v5
	v_fma_f32 v51, v59, s10, -v91
	v_mul_f32_e32 v88, 0xbf0a6770, v65
	v_add_f32_e32 v23, v51, v23
	v_mov_b32_e32 v51, v88
	v_fmac_f32_e32 v51, 0x3f575c64, v45
	v_mul_f32_e32 v93, 0xbf0a6770, v55
	v_add_f32_e32 v22, v51, v22
	v_fma_f32 v51, v71, s7, -v93
	v_mul_f32_e32 v89, 0xbe903f40, v73
	v_add_f32_e32 v23, v51, v23
	v_mov_b32_e32 v51, v89
	v_fmac_f32_e32 v51, 0xbf75a155, v57
	v_mul_f32_e32 v94, 0xbe903f40, v68
	v_add_f32_e32 v22, v51, v22
	v_fma_f32 v51, v69, s16, -v94
	v_mul_f32_e32 v92, 0x3f68dda4, v80
	v_add_f32_e32 v23, v51, v23
	v_mov_b32_e32 v51, v92
	v_mul_f32_e32 v95, 0x3f68dda4, v79
	v_fmac_f32_e32 v51, 0x3ed4b147, v70
	v_fma_f32 v96, v72, s6, -v95
	v_add_f32_e32 v22, v51, v22
	v_add_f32_e32 v23, v96, v23
	v_mul_lo_u16_e32 v51, 11, v47
	s_barrier
	s_and_saveexec_b64 s[4:5], s[0:1]
	s_cbranch_execz .LBB0_7
; %bb.6:
	v_mul_f32_e32 v99, 0x3f575c64, v52
	v_mul_f32_e32 v101, 0x3ed4b147, v52
	;; [unrolled: 1-line block ×9, first 2 shown]
	v_mov_b32_e32 v96, v52
	v_mul_f32_e32 v59, 0x3f575c64, v59
	v_fmac_f32_e32 v96, 0x3e903f40, v39
	v_mov_b32_e32 v97, v59
	v_mul_f32_e32 v115, 0xbe11bafb, v71
	v_mul_f32_e32 v117, 0xbf75a155, v71
	;; [unrolled: 1-line block ×4, first 2 shown]
	v_add_f32_e32 v96, v96, v5
	v_fmac_f32_e32 v97, 0xbf0a6770, v44
	v_mul_f32_e32 v71, 0xbf27a4f4, v71
	v_add_f32_e32 v96, v97, v96
	v_mov_b32_e32 v97, v71
	v_fmac_f32_e32 v97, 0x3f4178ce, v55
	v_mul_f32_e32 v122, 0x3ed4b147, v69
	v_add_f32_e32 v96, v97, v96
	v_mov_b32_e32 v97, v122
	;; [unrolled: 4-line block ×4, first 2 shown]
	v_mul_f32_e32 v53, 0x3f0a6770, v53
	v_fmac_f32_e32 v96, 0xbf75a155, v34
	v_mov_b32_e32 v124, v53
	v_add_f32_e32 v96, v96, v4
	v_fmac_f32_e32 v124, 0x3f575c64, v41
	v_mul_f32_e32 v65, 0xbf4178ce, v65
	v_mul_f32_e32 v98, 0x3f575c64, v34
	;; [unrolled: 1-line block ×5, first 2 shown]
	v_add_f32_e32 v96, v124, v96
	v_mov_b32_e32 v124, v65
	v_fma_f32 v34, v34, s16, -v43
	v_mul_f32_e32 v106, 0x3ed4b147, v41
	v_mul_f32_e32 v108, 0xbf27a4f4, v41
	;; [unrolled: 1-line block ×4, first 2 shown]
	v_fmac_f32_e32 v124, 0xbf27a4f4, v45
	v_mul_f32_e32 v73, 0x3f68dda4, v73
	v_fma_f32 v41, v41, s7, -v53
	v_add_f32_e32 v34, v34, v4
	v_add_f32_e32 v96, v124, v96
	v_mov_b32_e32 v124, v73
	v_add_f32_e32 v34, v41, v34
	v_fma_f32 v43, v45, s11, -v65
	v_fmac_f32_e32 v124, 0x3ed4b147, v57
	v_mul_f32_e32 v80, 0xbf7d64f0, v80
	v_add_f32_e32 v34, v43, v34
	v_fma_f32 v43, v57, s6, -v73
	v_add_f32_e32 v96, v124, v96
	v_mov_b32_e32 v124, v80
	v_fmac_f32_e32 v52, 0xbe903f40, v39
	v_add_f32_e32 v34, v43, v34
	v_fma_f32 v43, v70, s10, -v80
	v_fmac_f32_e32 v124, 0xbe11bafb, v70
	v_fmac_f32_e32 v59, 0x3f0a6770, v44
	v_add_f32_e32 v44, v52, v5
	v_add_f32_e32 v43, v43, v34
	;; [unrolled: 1-line block ×4, first 2 shown]
	v_mul_f32_e32 v124, 0xbf27a4f4, v57
	v_mul_f32_e32 v39, 0xbe11bafb, v57
	v_add_f32_e32 v44, v59, v44
	v_mul_f32_e32 v59, 0x3f575c64, v57
	v_mul_f32_e32 v52, 0xbf75a155, v57
	v_add_f32_e32 v34, v34, v5
	v_add_f32_e32 v57, v91, v113
	v_mul_f32_e32 v125, 0xbf27a4f4, v69
	v_mul_f32_e32 v126, 0xbe11bafb, v69
	v_fmac_f32_e32 v71, 0xbf4178ce, v55
	v_mul_f32_e32 v55, 0x3f575c64, v69
	v_mul_f32_e32 v69, 0xbf75a155, v69
	v_add_f32_e32 v34, v57, v34
	v_add_f32_e32 v57, v93, v121
	v_mul_f32_e32 v53, 0x3ed4b147, v72
	v_add_f32_e32 v34, v57, v34
	v_add_f32_e32 v57, v94, v69
	;; [unrolled: 1-line block ×5, first 2 shown]
	v_sub_f32_e32 v34, v104, v86
	v_mul_f32_e32 v120, 0x3f575c64, v45
	v_add_f32_e32 v34, v34, v4
	v_sub_f32_e32 v57, v112, v87
	v_add_f32_e32 v34, v57, v34
	v_sub_f32_e32 v57, v120, v88
	v_mul_f32_e32 v114, 0xbe11bafb, v45
	v_mul_f32_e32 v116, 0xbf75a155, v45
	;; [unrolled: 1-line block ×4, first 2 shown]
	v_add_f32_e32 v34, v57, v34
	v_sub_f32_e32 v52, v52, v89
	v_add_f32_e32 v34, v52, v34
	v_sub_f32_e32 v45, v45, v92
	v_add_f32_e32 v52, v45, v34
	v_add_f32_e32 v34, v81, v103
	;; [unrolled: 1-line block ×6, first 2 shown]
	v_mul_f32_e32 v41, 0xbf27a4f4, v72
	v_add_f32_e32 v34, v45, v34
	v_add_f32_e32 v45, v84, v55
	;; [unrolled: 1-line block ×5, first 2 shown]
	v_sub_f32_e32 v34, v102, v74
	v_add_f32_e32 v34, v34, v4
	v_sub_f32_e32 v41, v110, v75
	v_add_f32_e32 v34, v41, v34
	v_sub_f32_e32 v41, v118, v76
	v_fmac_f32_e32 v122, 0x3f68dda4, v68
	v_mul_f32_e32 v68, 0xbf27a4f4, v70
	v_add_f32_e32 v34, v41, v34
	v_sub_f32_e32 v41, v59, v77
	v_add_f32_e32 v34, v41, v34
	v_sub_f32_e32 v41, v68, v78
	v_add_f32_e32 v68, v41, v34
	v_add_f32_e32 v34, v61, v101
	v_add_f32_e32 v34, v34, v5
	v_add_f32_e32 v41, v62, v109
	v_add_f32_e32 v34, v41, v34
	v_add_f32_e32 v41, v64, v117
	v_mul_f32_e32 v127, 0x3f575c64, v72
	v_add_f32_e32 v34, v41, v34
	v_add_f32_e32 v41, v66, v126
	;; [unrolled: 1-line block ×5, first 2 shown]
	v_sub_f32_e32 v34, v100, v54
	v_add_f32_e32 v29, v29, v99
	v_sub_f32_e32 v28, v98, v28
	v_add_f32_e32 v34, v34, v4
	v_add_f32_e32 v29, v29, v5
	;; [unrolled: 1-line block ×14, first 2 shown]
	v_sub_f32_e32 v30, v106, v30
	v_add_f32_e32 v5, v9, v5
	v_add_f32_e32 v4, v8, v4
	;; [unrolled: 1-line block ×3, first 2 shown]
	v_sub_f32_e32 v41, v108, v56
	v_add_f32_e32 v29, v31, v29
	v_add_f32_e32 v31, v33, v115
	;; [unrolled: 1-line block ×3, first 2 shown]
	v_sub_f32_e32 v30, v114, v32
	v_add_f32_e32 v5, v11, v5
	v_add_f32_e32 v4, v10, v4
	v_mul_f32_e32 v71, 0xbf75a155, v70
	v_add_f32_e32 v44, v122, v44
	v_mul_f32_e32 v122, 0xbf75a155, v72
	v_add_f32_e32 v34, v41, v34
	v_sub_f32_e32 v41, v116, v58
	v_add_f32_e32 v29, v31, v29
	v_add_f32_e32 v31, v40, v125
	;; [unrolled: 1-line block ×3, first 2 shown]
	v_sub_f32_e32 v30, v124, v35
	v_add_f32_e32 v5, v25, v5
	v_add_f32_e32 v4, v24, v4
	v_fmac_f32_e32 v123, 0xbf7d64f0, v79
	v_mul_f32_e32 v79, 0x3f575c64, v70
	v_add_f32_e32 v34, v41, v34
	v_sub_f32_e32 v39, v39, v60
	v_add_f32_e32 v29, v31, v29
	v_add_f32_e32 v31, v46, v122
	v_add_f32_e32 v28, v30, v28
	v_sub_f32_e32 v30, v71, v42
	v_add_f32_e32 v5, v27, v5
	v_add_f32_e32 v4, v26, v4
	v_add_f32_e32 v34, v39, v34
	v_sub_f32_e32 v39, v79, v63
	v_add_f32_e32 v29, v31, v29
	v_add_f32_e32 v28, v30, v28
	v_add_f32_e32 v5, v21, v5
	v_add_f32_e32 v4, v20, v4
	v_add_lshl_u32 v6, v49, v51, 3
	v_add_f32_e32 v44, v123, v44
	v_add_f32_e32 v54, v39, v34
	ds_write2_b64 v6, v[4:5], v[28:29] offset1:1
	ds_write2_b64 v6, v[54:55], v[68:69] offset0:2 offset1:3
	ds_write2_b64 v6, v[52:53], v[43:44] offset0:4 offset1:5
	;; [unrolled: 1-line block ×4, first 2 shown]
	ds_write_b64 v6, v[37:38] offset:80
.LBB0_7:
	s_or_b64 exec, exec, s[4:5]
	v_add_co_u32_e32 v24, vcc, -11, v47
	s_load_dwordx4 s[4:7], s[2:3], 0x0
	v_addc_co_u32_e64 v25, s[2:3], 0, -1, vcc
	v_cmp_gt_u16_e64 s[2:3], 11, v47
	v_cndmask_b32_e64 v34, v24, v47, s[2:3]
	v_mul_hi_i32_i24_e32 v5, 6, v34
	v_mul_i32_i24_e32 v4, 6, v34
	v_lshlrev_b64 v[4:5], 3, v[4:5]
	v_mov_b32_e32 v6, s9
	v_add_co_u32_e32 v16, vcc, s8, v4
	v_addc_co_u32_e32 v17, vcc, v6, v5, vcc
	s_waitcnt lgkmcnt(0)
	s_barrier
	global_load_dwordx4 v[12:15], v[16:17], off
	global_load_dwordx4 v[8:11], v[16:17], off offset:16
	global_load_dwordx4 v[4:7], v[16:17], off offset:32
	v_add_lshl_u32 v52, v49, v47, 3
	ds_read2_b64 v[16:19], v52 offset1:22
	ds_read2_b64 v[26:29], v52 offset0:44 offset1:66
	ds_read2_b64 v[30:33], v52 offset0:88 offset1:110
	ds_read_b64 v[20:21], v52 offset:1056
	s_mov_b32 s11, 0x3f3bfb3b
	s_mov_b32 s10, 0x3f5ff5aa
	v_cmp_lt_u16_e32 vcc, 10, v47
	s_waitcnt vmcnt(0) lgkmcnt(0)
	s_barrier
	v_mul_f32_e32 v35, v19, v13
	v_mul_f32_e32 v39, v18, v13
	;; [unrolled: 1-line block ×11, first 2 shown]
	v_fma_f32 v18, v18, v12, -v35
	v_fmac_f32_e32 v39, v19, v12
	v_fma_f32 v19, v26, v14, -v40
	v_fma_f32 v26, v28, v8, -v42
	;; [unrolled: 1-line block ×4, first 2 shown]
	v_mul_f32_e32 v45, v30, v11
	v_fmac_f32_e32 v41, v27, v14
	v_fma_f32 v27, v30, v10, -v44
	v_fmac_f32_e32 v53, v33, v4
	v_fmac_f32_e32 v55, v21, v6
	v_add_f32_e32 v21, v18, v20
	v_add_f32_e32 v30, v19, v28
	v_fmac_f32_e32 v43, v29, v8
	v_fmac_f32_e32 v45, v31, v10
	v_add_f32_e32 v29, v39, v55
	v_add_f32_e32 v31, v41, v53
	;; [unrolled: 1-line block ×4, first 2 shown]
	v_sub_f32_e32 v18, v18, v20
	v_sub_f32_e32 v20, v39, v55
	v_add_f32_e32 v33, v43, v45
	v_add_f32_e32 v39, v31, v29
	v_sub_f32_e32 v40, v30, v21
	v_sub_f32_e32 v21, v21, v32
	;; [unrolled: 1-line block ×3, first 2 shown]
	v_add_f32_e32 v32, v32, v35
	v_sub_f32_e32 v19, v19, v28
	v_sub_f32_e32 v28, v41, v53
	;; [unrolled: 1-line block ×5, first 2 shown]
	v_add_f32_e32 v33, v33, v39
	v_add_f32_e32 v16, v16, v32
	v_sub_f32_e32 v26, v27, v26
	v_add_f32_e32 v17, v17, v33
	v_mov_b32_e32 v46, v16
	v_sub_f32_e32 v27, v45, v43
	v_add_f32_e32 v42, v26, v19
	v_sub_f32_e32 v44, v26, v19
	v_mul_f32_e32 v35, 0x3d64c772, v30
	v_mul_f32_e32 v39, 0x3d64c772, v31
	v_fmac_f32_e32 v46, 0xbf955555, v32
	v_mov_b32_e32 v32, v17
	v_add_f32_e32 v43, v27, v28
	v_sub_f32_e32 v45, v27, v28
	v_sub_f32_e32 v26, v18, v26
	v_sub_f32_e32 v19, v19, v18
	v_add_f32_e32 v18, v42, v18
	v_mul_f32_e32 v21, 0x3f4a47b2, v21
	v_mul_f32_e32 v29, 0x3f4a47b2, v29
	;; [unrolled: 1-line block ×3, first 2 shown]
	v_fmac_f32_e32 v32, 0xbf955555, v33
	v_fma_f32 v33, v40, s11, -v35
	v_fma_f32 v35, v41, s11, -v39
	s_mov_b32 s11, 0xbf3bfb3b
	v_sub_f32_e32 v27, v20, v27
	v_sub_f32_e32 v28, v28, v20
	v_add_f32_e32 v20, v43, v20
	v_mul_f32_e32 v43, 0xbf08b237, v45
	v_fma_f32 v39, v40, s11, -v21
	v_fmac_f32_e32 v21, 0x3d64c772, v30
	v_fma_f32 v30, v41, s11, -v29
	v_fmac_f32_e32 v29, 0x3d64c772, v31
	v_fma_f32 v31, v19, s10, -v42
	v_mul_f32_e32 v44, 0x3f5ff5aa, v19
	v_mul_f32_e32 v45, 0x3f5ff5aa, v28
	v_fma_f32 v40, v28, s10, -v43
	s_mov_b32 s10, 0xbeae86e6
	v_add_f32_e32 v35, v35, v32
	v_fmac_f32_e32 v31, 0x3ee1c552, v18
	v_fma_f32 v41, v26, s10, -v44
	v_fma_f32 v44, v27, s10, -v45
	v_add_f32_e32 v45, v29, v32
	v_add_f32_e32 v29, v31, v35
	v_sub_f32_e32 v31, v35, v31
	v_mov_b32_e32 v35, 0x4d
	v_fmac_f32_e32 v42, 0x3eae86e6, v26
	v_fmac_f32_e32 v43, 0x3eae86e6, v27
	v_cndmask_b32_e32 v35, 0, v35, vcc
	v_add_f32_e32 v21, v21, v46
	v_add_f32_e32 v33, v33, v46
	v_add_f32_e32 v39, v39, v46
	v_add_f32_e32 v46, v30, v32
	v_fmac_f32_e32 v42, 0x3ee1c552, v18
	v_fmac_f32_e32 v43, 0x3ee1c552, v20
	;; [unrolled: 1-line block ×5, first 2 shown]
	v_add_u32_e32 v34, v34, v35
	v_add_f32_e32 v18, v43, v21
	v_sub_f32_e32 v19, v45, v42
	v_sub_f32_e32 v28, v33, v40
	v_add_f32_e32 v30, v40, v33
	v_sub_f32_e32 v32, v39, v44
	v_add_f32_e32 v33, v41, v46
	v_add_lshl_u32 v54, v49, v34, 3
	v_add_f32_e32 v26, v44, v39
	v_sub_f32_e32 v27, v46, v41
	v_sub_f32_e32 v20, v21, v43
	v_add_f32_e32 v21, v42, v45
	ds_write2_b64 v54, v[16:17], v[18:19] offset1:11
	ds_write2_b64 v54, v[26:27], v[28:29] offset0:22 offset1:33
	ds_write2_b64 v54, v[30:31], v[32:33] offset0:44 offset1:55
	ds_write_b64 v54, v[20:21] offset:528
	s_waitcnt lgkmcnt(0)
	s_barrier
	ds_read2_b64 v[32:35], v52 offset1:22
	ds_read2_b64 v[28:31], v52 offset0:44 offset1:77
	ds_read2_b64 v[16:19], v52 offset0:99 offset1:121
	s_and_saveexec_b64 s[10:11], s[2:3]
	s_cbranch_execz .LBB0_9
; %bb.8:
	ds_read2_b64 v[20:23], v52 offset0:66 offset1:143
	v_add_co_u32_e32 v24, vcc, 0x42, v47
	v_addc_co_u32_e64 v25, s[16:17], 0, 0, vcc
.LBB0_9:
	s_or_b64 exec, exec, s[10:11]
	v_lshlrev_b64 v[24:25], 3, v[24:25]
	global_load_dwordx2 v[41:42], v48, s[8:9] offset:528
	global_load_dwordx2 v[43:44], v48, s[8:9] offset:704
	;; [unrolled: 1-line block ×3, first 2 shown]
	v_mov_b32_e32 v26, s9
	v_add_co_u32_e32 v24, vcc, s8, v24
	v_addc_co_u32_e32 v25, vcc, v26, v25, vcc
	global_load_dwordx2 v[39:40], v[24:25], off offset:528
	v_lshl_add_u32 v53, v47, 3, v50
	v_add_u32_e32 v55, v48, v50
	s_waitcnt vmcnt(3) lgkmcnt(1)
	v_mul_f32_e32 v25, v30, v42
	s_waitcnt vmcnt(2) lgkmcnt(0)
	v_mul_f32_e32 v26, v17, v44
	s_waitcnt vmcnt(1)
	v_mul_f32_e32 v57, v18, v46
	v_mul_f32_e32 v27, v16, v44
	;; [unrolled: 1-line block ×3, first 2 shown]
	v_fmac_f32_e32 v57, v19, v45
	v_mul_f32_e32 v24, v31, v42
	v_fmac_f32_e32 v25, v31, v41
	v_fma_f32 v16, v16, v43, -v26
	v_fmac_f32_e32 v27, v17, v43
	v_fma_f32 v17, v18, v45, -v56
	v_sub_f32_e32 v31, v29, v57
	s_waitcnt vmcnt(0)
	v_mul_f32_e32 v56, v23, v40
	v_mul_f32_e32 v57, v22, v40
	v_fma_f32 v24, v30, v41, -v24
	v_sub_f32_e32 v26, v34, v16
	v_sub_f32_e32 v27, v35, v27
	v_fma_f32 v22, v22, v39, -v56
	v_fmac_f32_e32 v57, v23, v39
	v_sub_f32_e32 v18, v32, v24
	v_sub_f32_e32 v19, v33, v25
	;; [unrolled: 1-line block ×3, first 2 shown]
	v_fma_f32 v24, v34, 2.0, -v26
	v_fma_f32 v25, v35, 2.0, -v27
	v_sub_f32_e32 v34, v20, v22
	v_sub_f32_e32 v35, v21, v57
	v_fma_f32 v16, v32, 2.0, -v18
	v_fma_f32 v17, v33, 2.0, -v19
	;; [unrolled: 1-line block ×6, first 2 shown]
	ds_write_b64 v53, v[26:27] offset:792
	ds_write2_b64 v53, v[16:17], v[24:25] offset1:22
	ds_write2_b64 v53, v[28:29], v[18:19] offset0:44 offset1:77
	ds_write_b64 v55, v[30:31] offset:968
	s_and_saveexec_b64 s[8:9], s[2:3]
	s_cbranch_execz .LBB0_11
; %bb.10:
	ds_write2_b64 v53, v[32:33], v[34:35] offset0:66 offset1:143
.LBB0_11:
	s_or_b64 exec, exec, s[8:9]
	s_waitcnt lgkmcnt(0)
	s_barrier
	s_and_saveexec_b64 s[8:9], s[0:1]
	s_cbranch_execz .LBB0_13
; %bb.12:
	global_load_dwordx2 v[72:73], v48, s[12:13] offset:1232
	s_add_u32 s10, s12, 0x4d0
	s_addc_u32 s11, s13, 0
	global_load_dwordx2 v[74:75], v48, s[10:11] offset:112
	global_load_dwordx2 v[76:77], v48, s[10:11] offset:224
	;; [unrolled: 1-line block ×10, first 2 shown]
	ds_read2_b64 v[20:23], v53 offset1:14
	ds_read2_b64 v[56:59], v53 offset0:28 offset1:42
	ds_read2_b64 v[60:63], v53 offset0:56 offset1:70
	;; [unrolled: 1-line block ×4, first 2 shown]
	ds_read_b64 v[94:95], v53 offset:1120
	s_waitcnt vmcnt(7) lgkmcnt(4)
	v_mul_f32_e32 v98, v59, v79
	s_waitcnt vmcnt(6) lgkmcnt(3)
	v_mul_f32_e32 v99, v61, v81
	s_waitcnt vmcnt(5)
	v_mul_f32_e32 v100, v63, v83
	s_waitcnt vmcnt(4) lgkmcnt(2)
	v_mul_f32_e32 v101, v65, v85
	v_mul_f32_e32 v96, v21, v73
	;; [unrolled: 1-line block ×3, first 2 shown]
	v_fma_f32 v96, v20, v72, -v96
	v_fmac_f32_e32 v97, v21, v72
	v_mul_f32_e32 v20, v23, v75
	v_mul_f32_e32 v21, v22, v75
	;; [unrolled: 1-line block ×8, first 2 shown]
	s_waitcnt vmcnt(3)
	v_mul_f32_e32 v102, v67, v87
	v_mul_f32_e32 v83, v66, v87
	s_waitcnt vmcnt(2) lgkmcnt(1)
	v_mul_f32_e32 v103, v69, v89
	v_mul_f32_e32 v85, v68, v89
	s_waitcnt vmcnt(1)
	v_mul_f32_e32 v104, v71, v91
	v_mul_f32_e32 v87, v70, v91
	s_waitcnt vmcnt(0) lgkmcnt(0)
	v_mul_f32_e32 v91, v95, v93
	v_mul_f32_e32 v89, v94, v93
	v_fma_f32 v20, v22, v74, -v20
	v_fmac_f32_e32 v21, v23, v74
	v_fma_f32 v72, v56, v76, -v72
	v_fmac_f32_e32 v73, v57, v76
	;; [unrolled: 2-line block ×10, first 2 shown]
	ds_write2_b64 v53, v[96:97], v[20:21] offset1:14
	ds_write2_b64 v53, v[72:73], v[74:75] offset0:28 offset1:42
	ds_write2_b64 v53, v[76:77], v[78:79] offset0:56 offset1:70
	;; [unrolled: 1-line block ×4, first 2 shown]
	ds_write_b64 v53, v[88:89] offset:1120
.LBB0_13:
	s_or_b64 exec, exec, s[8:9]
	s_waitcnt lgkmcnt(0)
	s_barrier
	s_and_saveexec_b64 s[8:9], s[0:1]
	s_cbranch_execz .LBB0_15
; %bb.14:
	ds_read2_b64 v[16:19], v53 offset1:14
	ds_read2_b64 v[24:27], v53 offset0:28 offset1:42
	ds_read2_b64 v[28:31], v53 offset0:56 offset1:70
	;; [unrolled: 1-line block ×4, first 2 shown]
	ds_read_b64 v[37:38], v53 offset:1120
.LBB0_15:
	s_or_b64 exec, exec, s[8:9]
	s_waitcnt lgkmcnt(0)
	v_sub_f32_e32 v64, v19, v38
	v_add_f32_e32 v22, v37, v18
	v_add_f32_e32 v67, v38, v19
	s_mov_b32 s10, 0xbf27a4f4
	v_mul_f32_e32 v74, 0xbf4178ce, v64
	v_sub_f32_e32 v65, v25, v3
	v_mul_f32_e32 v76, 0xbf27a4f4, v67
	v_fma_f32 v20, v22, s10, -v74
	v_add_f32_e32 v23, v2, v24
	v_add_f32_e32 v69, v3, v25
	s_mov_b32 s11, 0xbe11bafb
	v_mul_f32_e32 v75, 0x3f7d64f0, v65
	v_sub_f32_e32 v56, v18, v37
	v_add_f32_e32 v20, v16, v20
	v_mov_b32_e32 v21, v76
	v_mul_f32_e32 v78, 0xbe11bafb, v69
	v_fma_f32 v57, v23, s11, -v75
	v_fmac_f32_e32 v21, 0xbf4178ce, v56
	v_sub_f32_e32 v58, v24, v2
	v_add_f32_e32 v20, v57, v20
	v_mov_b32_e32 v57, v78
	v_add_f32_e32 v21, v17, v21
	v_fmac_f32_e32 v57, 0x3f7d64f0, v58
	v_sub_f32_e32 v66, v27, v1
	v_add_f32_e32 v21, v57, v21
	v_add_f32_e32 v57, v0, v26
	v_add_f32_e32 v71, v1, v27
	s_mov_b32 s16, 0x3f575c64
	v_mul_f32_e32 v77, 0xbf0a6770, v66
	v_mul_f32_e32 v80, 0x3f575c64, v71
	v_fma_f32 v59, v57, s16, -v77
	v_sub_f32_e32 v60, v26, v0
	v_add_f32_e32 v20, v59, v20
	v_mov_b32_e32 v59, v80
	v_fmac_f32_e32 v59, 0xbf0a6770, v60
	v_sub_f32_e32 v68, v29, v35
	v_add_f32_e32 v21, v59, v21
	v_add_f32_e32 v59, v34, v28
	v_add_f32_e32 v72, v35, v29
	s_mov_b32 s17, 0xbf75a155
	v_mul_f32_e32 v79, 0xbe903f40, v68
	v_mul_f32_e32 v82, 0xbf75a155, v72
	v_fma_f32 v61, v59, s17, -v79
	v_sub_f32_e32 v62, v28, v34
	v_add_f32_e32 v20, v61, v20
	v_mov_b32_e32 v61, v82
	v_fmac_f32_e32 v61, 0xbe903f40, v62
	v_sub_f32_e32 v70, v31, v33
	v_add_f32_e32 v21, v61, v21
	v_add_f32_e32 v61, v32, v30
	v_add_f32_e32 v73, v33, v31
	s_mov_b32 s18, 0x3ed4b147
	v_mul_f32_e32 v81, 0x3f68dda4, v70
	v_mul_f32_e32 v83, 0x3ed4b147, v73
	v_fma_f32 v84, v61, s18, -v81
	v_sub_f32_e32 v63, v30, v32
	v_add_f32_e32 v20, v84, v20
	v_mov_b32_e32 v84, v83
	v_fmac_f32_e32 v84, 0x3f68dda4, v63
	v_add_f32_e32 v21, v84, v21
	s_barrier
	s_and_saveexec_b64 s[8:9], s[0:1]
	s_cbranch_execz .LBB0_17
; %bb.16:
	v_mul_f32_e32 v88, 0xbf27a4f4, v22
	v_mul_f32_e32 v90, 0xbe11bafb, v23
	v_add_f32_e32 v74, v88, v74
	v_mul_f32_e32 v89, 0xbf4178ce, v56
	v_mul_f32_e32 v92, 0x3f575c64, v57
	v_add_f32_e32 v74, v16, v74
	v_add_f32_e32 v75, v90, v75
	v_mul_f32_e32 v91, 0x3f7d64f0, v58
	v_mul_f32_e32 v94, 0xbf75a155, v59
	v_sub_f32_e32 v76, v76, v89
	v_add_f32_e32 v74, v75, v74
	v_add_f32_e32 v75, v92, v77
	v_mul_f32_e32 v93, 0xbf0a6770, v60
	v_mul_f32_e32 v96, 0x3ed4b147, v61
	v_add_f32_e32 v76, v17, v76
	v_sub_f32_e32 v78, v78, v91
	v_add_f32_e32 v74, v75, v74
	v_add_f32_e32 v75, v94, v79
	v_mul_f32_e32 v95, 0xbe903f40, v62
	v_add_f32_e32 v76, v78, v76
	v_sub_f32_e32 v78, v80, v93
	v_add_f32_e32 v74, v75, v74
	v_add_f32_e32 v75, v96, v81
	v_mul_f32_e32 v97, 0x3f68dda4, v63
	v_add_f32_e32 v76, v78, v76
	v_sub_f32_e32 v78, v82, v95
	v_add_f32_e32 v75, v75, v74
	v_mul_f32_e32 v74, 0xbe11bafb, v67
	v_add_f32_e32 v76, v78, v76
	v_sub_f32_e32 v78, v83, v97
	v_mov_b32_e32 v77, v74
	v_mul_f32_e32 v81, 0xbf75a155, v69
	v_add_f32_e32 v76, v78, v76
	v_fmac_f32_e32 v77, 0x3f7d64f0, v56
	v_mov_b32_e32 v78, v81
	v_add_f32_e32 v77, v17, v77
	v_fmac_f32_e32 v78, 0xbe903f40, v58
	v_mul_f32_e32 v82, 0x3ed4b147, v71
	v_add_f32_e32 v77, v78, v77
	v_mov_b32_e32 v78, v82
	v_fmac_f32_e32 v78, 0xbf68dda4, v60
	v_mul_f32_e32 v83, 0x3f575c64, v72
	v_add_f32_e32 v77, v78, v77
	v_mov_b32_e32 v78, v83
	;; [unrolled: 4-line block ×4, first 2 shown]
	v_mul_f32_e32 v90, 0x3e903f40, v65
	v_fmac_f32_e32 v77, 0xbe11bafb, v22
	v_mov_b32_e32 v79, v90
	v_add_f32_e32 v77, v16, v77
	v_fmac_f32_e32 v79, 0xbf75a155, v23
	v_mul_f32_e32 v91, 0x3f68dda4, v66
	v_add_f32_e32 v77, v79, v77
	v_mov_b32_e32 v79, v91
	v_fmac_f32_e32 v79, 0x3ed4b147, v57
	v_mul_f32_e32 v92, 0xbf0a6770, v68
	v_add_f32_e32 v77, v79, v77
	v_mov_b32_e32 v79, v92
	;; [unrolled: 4-line block ×3, first 2 shown]
	v_mul_f32_e32 v86, 0xbe903f40, v56
	v_fmac_f32_e32 v79, 0xbf27a4f4, v61
	v_mul_f32_e32 v94, 0x3ed4b147, v67
	v_mov_b32_e32 v84, v86
	v_mul_f32_e32 v87, 0x3f0a6770, v58
	v_add_f32_e32 v77, v79, v77
	v_mov_b32_e32 v79, v94
	v_mul_f32_e32 v95, 0xbf27a4f4, v69
	v_fmac_f32_e32 v84, 0xbf75a155, v67
	v_mov_b32_e32 v85, v87
	v_fmac_f32_e32 v79, 0x3f68dda4, v56
	v_mov_b32_e32 v80, v95
	v_add_f32_e32 v84, v17, v84
	v_fmac_f32_e32 v85, 0x3f575c64, v69
	v_mul_f32_e32 v98, 0xbf4178ce, v60
	v_add_f32_e32 v79, v17, v79
	v_fmac_f32_e32 v80, 0x3f4178ce, v58
	v_mul_f32_e32 v96, 0xbf75a155, v71
	v_add_f32_e32 v84, v85, v84
	v_mov_b32_e32 v85, v98
	v_add_f32_e32 v79, v80, v79
	v_mov_b32_e32 v80, v96
	v_fmac_f32_e32 v85, 0xbf27a4f4, v71
	v_mul_f32_e32 v99, 0x3f68dda4, v62
	v_fma_f32 v86, v67, s17, -v86
	v_fmac_f32_e32 v80, 0xbe903f40, v60
	v_mul_f32_e32 v97, 0xbe11bafb, v72
	v_add_f32_e32 v84, v85, v84
	v_mov_b32_e32 v85, v99
	v_add_f32_e32 v86, v17, v86
	v_fma_f32 v87, v69, s16, -v87
	v_add_f32_e32 v79, v80, v79
	v_mov_b32_e32 v80, v97
	v_fmac_f32_e32 v85, 0x3ed4b147, v72
	v_mul_f32_e32 v100, 0xbf7d64f0, v63
	v_add_f32_e32 v86, v87, v86
	v_fma_f32 v87, v71, s10, -v98
	v_fmac_f32_e32 v80, 0xbf7d64f0, v62
	v_mul_f32_e32 v98, 0x3f575c64, v73
	v_add_f32_e32 v84, v85, v84
	v_mov_b32_e32 v85, v100
	v_add_f32_e32 v79, v80, v79
	v_mov_b32_e32 v80, v98
	v_add_f32_e32 v19, v19, v17
	v_fmac_f32_e32 v85, 0xbe11bafb, v73
	v_mul_f32_e32 v101, 0xbe903f40, v64
	v_add_f32_e32 v86, v87, v86
	v_fma_f32 v87, v72, s18, -v99
	v_fmac_f32_e32 v80, 0xbf0a6770, v63
	v_mul_f32_e32 v99, 0xbf68dda4, v64
	v_add_f32_e32 v19, v25, v19
	v_add_f32_e32 v85, v85, v84
	v_fma_f32 v84, v22, s17, -v101
	v_add_f32_e32 v86, v87, v86
	v_fma_f32 v87, v73, s11, -v100
	v_fmac_f32_e32 v101, 0xbf75a155, v22
	v_add_f32_e32 v80, v80, v79
	v_mov_b32_e32 v79, v99
	v_mul_f32_e32 v100, 0xbf4178ce, v65
	v_add_f32_e32 v19, v27, v19
	v_add_f32_e32 v87, v87, v86
	;; [unrolled: 1-line block ×3, first 2 shown]
	v_fmac_f32_e32 v79, 0x3ed4b147, v22
	v_mov_b32_e32 v101, v100
	v_add_f32_e32 v19, v29, v19
	v_mul_f32_e32 v102, 0x3f0a6770, v65
	v_add_f32_e32 v79, v16, v79
	v_fmac_f32_e32 v101, 0xbf27a4f4, v23
	v_add_f32_e32 v19, v31, v19
	v_fma_f32 v103, v23, s16, -v102
	v_fmac_f32_e32 v102, 0x3f575c64, v23
	v_add_f32_e32 v79, v101, v79
	v_mul_f32_e32 v101, 0x3e903f40, v66
	v_add_f32_e32 v19, v33, v19
	v_add_f32_e32 v84, v16, v84
	;; [unrolled: 1-line block ×3, first 2 shown]
	v_mov_b32_e32 v102, v101
	v_add_f32_e32 v19, v35, v19
	v_add_f32_e32 v84, v103, v84
	v_mul_f32_e32 v103, 0xbf4178ce, v66
	v_fmac_f32_e32 v102, 0xbf75a155, v57
	v_add_f32_e32 v1, v1, v19
	v_fma_f32 v104, v57, s10, -v103
	v_fmac_f32_e32 v103, 0xbf27a4f4, v57
	v_add_f32_e32 v79, v102, v79
	v_mul_f32_e32 v102, 0x3f7d64f0, v68
	v_add_f32_e32 v1, v3, v1
	v_add_f32_e32 v3, v18, v16
	;; [unrolled: 1-line block ×3, first 2 shown]
	v_mov_b32_e32 v103, v102
	v_add_f32_e32 v3, v24, v3
	v_add_f32_e32 v84, v104, v84
	v_mul_f32_e32 v104, 0x3f68dda4, v68
	v_fmac_f32_e32 v103, 0xbe11bafb, v59
	v_add_f32_e32 v3, v26, v3
	v_fma_f32 v105, v59, s18, -v104
	v_fmac_f32_e32 v104, 0x3ed4b147, v59
	v_add_f32_e32 v79, v103, v79
	v_mul_f32_e32 v103, 0x3f0a6770, v70
	v_add_f32_e32 v3, v28, v3
	v_add_f32_e32 v86, v104, v86
	v_mov_b32_e32 v104, v103
	v_add_f32_e32 v3, v30, v3
	v_fmac_f32_e32 v104, 0x3f575c64, v61
	v_add_f32_e32 v3, v32, v3
	v_add_f32_e32 v84, v105, v84
	v_mul_f32_e32 v105, 0xbf7d64f0, v70
	v_add_f32_e32 v79, v104, v79
	v_mul_f32_e32 v104, 0x3f575c64, v67
	v_add_f32_e32 v3, v34, v3
	v_fma_f32 v106, v61, s11, -v105
	v_fmac_f32_e32 v105, 0xbe11bafb, v61
	v_mov_b32_e32 v67, v104
	v_mul_f32_e32 v69, 0x3ed4b147, v69
	v_add_f32_e32 v0, v0, v3
	v_fmac_f32_e32 v74, 0xbf7d64f0, v56
	v_add_f32_e32 v86, v105, v86
	v_fmac_f32_e32 v67, 0x3f0a6770, v56
	v_mov_b32_e32 v105, v69
	v_add_f32_e32 v0, v2, v0
	v_add_f32_e32 v2, v17, v74
	v_fmac_f32_e32 v81, 0x3e903f40, v58
	v_add_f32_e32 v67, v17, v67
	v_fmac_f32_e32 v105, 0x3f68dda4, v58
	v_mul_f32_e32 v71, 0xbe11bafb, v71
	v_add_f32_e32 v2, v81, v2
	v_fmac_f32_e32 v82, 0x3f68dda4, v60
	v_add_f32_e32 v67, v105, v67
	v_mov_b32_e32 v105, v71
	v_add_f32_e32 v2, v82, v2
	v_fmac_f32_e32 v83, 0xbf0a6770, v62
	v_fmac_f32_e32 v105, 0x3f7d64f0, v60
	v_mul_f32_e32 v72, 0xbf27a4f4, v72
	v_add_f32_e32 v2, v83, v2
	v_fmac_f32_e32 v88, 0xbf4178ce, v63
	v_add_f32_e32 v67, v105, v67
	v_mov_b32_e32 v105, v72
	v_add_f32_e32 v3, v88, v2
	v_fma_f32 v2, v22, s11, -v89
	v_fmac_f32_e32 v105, 0x3f4178ce, v62
	v_mul_f32_e32 v73, 0xbf75a155, v73
	v_add_f32_e32 v2, v16, v2
	v_fma_f32 v18, v23, s17, -v90
	v_add_f32_e32 v67, v105, v67
	v_mov_b32_e32 v105, v73
	v_add_f32_e32 v2, v18, v2
	v_fma_f32 v18, v57, s18, -v91
	v_fmac_f32_e32 v105, 0x3e903f40, v63
	v_mul_f32_e32 v64, 0xbf0a6770, v64
	v_add_f32_e32 v2, v18, v2
	v_fma_f32 v18, v59, s16, -v92
	v_add_f32_e32 v67, v105, v67
	v_mov_b32_e32 v105, v64
	v_mul_f32_e32 v65, 0xbf68dda4, v65
	v_add_f32_e32 v2, v18, v2
	v_fma_f32 v18, v61, s10, -v93
	v_fmac_f32_e32 v94, 0xbf68dda4, v56
	v_add_f32_e32 v84, v106, v84
	v_fmac_f32_e32 v105, 0x3f575c64, v22
	v_mov_b32_e32 v106, v65
	v_add_f32_e32 v2, v18, v2
	v_add_f32_e32 v18, v17, v94
	v_fmac_f32_e32 v95, 0xbf4178ce, v58
	v_add_f32_e32 v105, v16, v105
	v_fmac_f32_e32 v106, 0x3ed4b147, v23
	;; [unrolled: 2-line block ×3, first 2 shown]
	v_add_f32_e32 v105, v106, v105
	v_mul_f32_e32 v106, 0xbf7d64f0, v66
	v_add_f32_e32 v18, v96, v18
	v_fmac_f32_e32 v97, 0x3f7d64f0, v62
	v_mov_b32_e32 v66, v106
	v_add_f32_e32 v18, v97, v18
	v_fmac_f32_e32 v98, 0x3f0a6770, v63
	v_fmac_f32_e32 v66, 0xbe11bafb, v57
	v_mul_f32_e32 v68, 0xbf4178ce, v68
	v_add_f32_e32 v19, v98, v18
	v_fma_f32 v18, v22, s18, -v99
	v_fma_f32 v22, v22, s16, -v64
	v_add_f32_e32 v66, v66, v105
	v_mov_b32_e32 v105, v68
	v_add_f32_e32 v18, v16, v18
	v_fmac_f32_e32 v104, 0xbf0a6770, v56
	v_add_f32_e32 v16, v16, v22
	v_fma_f32 v22, v23, s18, -v65
	v_fmac_f32_e32 v105, 0xbf27a4f4, v59
	v_mul_f32_e32 v70, 0xbe903f40, v70
	v_fma_f32 v24, v23, s10, -v100
	v_add_f32_e32 v17, v17, v104
	v_fmac_f32_e32 v69, 0xbf68dda4, v58
	v_add_f32_e32 v16, v22, v16
	v_fma_f32 v22, v57, s11, -v106
	v_add_f32_e32 v66, v105, v66
	v_mov_b32_e32 v105, v70
	v_add_f32_e32 v18, v24, v18
	v_fma_f32 v24, v57, s17, -v101
	v_add_f32_e32 v17, v69, v17
	v_fmac_f32_e32 v71, 0xbf7d64f0, v60
	v_add_f32_e32 v16, v22, v16
	v_fma_f32 v22, v59, s10, -v68
	v_fmac_f32_e32 v105, 0xbf75a155, v61
	v_add_f32_e32 v18, v24, v18
	v_fma_f32 v24, v59, s11, -v102
	v_add_f32_e32 v17, v71, v17
	v_fmac_f32_e32 v72, 0xbf4178ce, v62
	v_add_f32_e32 v16, v22, v16
	v_fma_f32 v22, v61, s17, -v70
	v_add_f32_e32 v66, v105, v66
	v_add_f32_e32 v1, v38, v1
	;; [unrolled: 1-line block ×4, first 2 shown]
	v_fma_f32 v24, v61, s16, -v103
	v_add_f32_e32 v17, v72, v17
	v_fmac_f32_e32 v73, 0xbe903f40, v63
	v_add_f32_e32 v16, v22, v16
	v_lshl_add_u32 v22, v51, 3, v50
	v_add_f32_e32 v18, v24, v18
	v_add_f32_e32 v17, v73, v17
	ds_write2_b64 v22, v[0:1], v[66:67] offset1:1
	ds_write2_b64 v22, v[79:80], v[77:78] offset0:2 offset1:3
	ds_write2_b64 v22, v[75:76], v[86:87] offset0:4 offset1:5
	;; [unrolled: 1-line block ×4, first 2 shown]
	ds_write_b64 v22, v[16:17] offset:80
.LBB0_17:
	s_or_b64 exec, exec, s[8:9]
	s_waitcnt lgkmcnt(0)
	s_barrier
	ds_read2_b64 v[0:3], v52 offset1:22
	ds_read2_b64 v[16:19], v52 offset0:44 offset1:66
	ds_read2_b64 v[22:25], v52 offset0:88 offset1:110
	ds_read_b64 v[26:27], v52 offset:1056
	s_mov_b32 s9, 0x3f3bfb3b
	s_waitcnt lgkmcnt(3)
	v_mul_f32_e32 v28, v13, v3
	v_fmac_f32_e32 v28, v12, v2
	v_mul_f32_e32 v2, v13, v2
	s_waitcnt lgkmcnt(2)
	v_mul_f32_e32 v13, v9, v19
	v_mul_f32_e32 v9, v9, v18
	v_fmac_f32_e32 v13, v8, v18
	v_fma_f32 v8, v8, v19, -v9
	s_waitcnt lgkmcnt(1)
	v_mul_f32_e32 v9, v11, v23
	v_mul_f32_e32 v11, v11, v22
	v_fmac_f32_e32 v9, v10, v22
	v_fma_f32 v10, v10, v23, -v11
	v_mul_f32_e32 v11, v5, v25
	v_mul_f32_e32 v5, v5, v24
	v_fma_f32 v2, v12, v3, -v2
	v_mul_f32_e32 v3, v15, v17
	v_fmac_f32_e32 v11, v4, v24
	v_fma_f32 v4, v4, v25, -v5
	s_waitcnt lgkmcnt(0)
	v_mul_f32_e32 v5, v7, v27
	v_mul_f32_e32 v7, v7, v26
	v_fmac_f32_e32 v3, v14, v16
	v_mul_f32_e32 v12, v15, v16
	v_fmac_f32_e32 v5, v6, v26
	v_fma_f32 v6, v6, v27, -v7
	v_fma_f32 v12, v14, v17, -v12
	v_add_f32_e32 v7, v28, v5
	v_add_f32_e32 v14, v2, v6
	v_sub_f32_e32 v2, v2, v6
	v_add_f32_e32 v6, v3, v11
	v_add_f32_e32 v15, v12, v4
	v_sub_f32_e32 v3, v3, v11
	v_sub_f32_e32 v4, v12, v4
	v_add_f32_e32 v11, v13, v9
	v_add_f32_e32 v12, v8, v10
	v_sub_f32_e32 v8, v10, v8
	v_add_f32_e32 v10, v6, v7
	v_sub_f32_e32 v9, v9, v13
	v_add_f32_e32 v13, v15, v14
	v_add_f32_e32 v10, v11, v10
	v_sub_f32_e32 v16, v6, v7
	v_sub_f32_e32 v7, v7, v11
	;; [unrolled: 1-line block ×3, first 2 shown]
	v_add_f32_e32 v11, v12, v13
	v_add_f32_e32 v0, v0, v10
	v_sub_f32_e32 v17, v15, v14
	v_sub_f32_e32 v14, v14, v12
	;; [unrolled: 1-line block ×3, first 2 shown]
	v_add_f32_e32 v1, v1, v11
	v_mov_b32_e32 v24, v0
	v_sub_f32_e32 v5, v28, v5
	v_add_f32_e32 v18, v9, v3
	v_add_f32_e32 v19, v8, v4
	v_sub_f32_e32 v22, v9, v3
	v_sub_f32_e32 v23, v8, v4
	v_mul_f32_e32 v12, 0x3f4a47b2, v14
	v_mul_f32_e32 v13, 0x3d64c772, v6
	;; [unrolled: 1-line block ×3, first 2 shown]
	v_fmac_f32_e32 v24, 0xbf955555, v10
	v_mov_b32_e32 v10, v1
	v_sub_f32_e32 v9, v5, v9
	v_sub_f32_e32 v8, v2, v8
	;; [unrolled: 1-line block ×4, first 2 shown]
	v_add_f32_e32 v5, v18, v5
	v_add_f32_e32 v2, v19, v2
	v_mul_f32_e32 v7, 0x3f4a47b2, v7
	v_mul_f32_e32 v19, 0x3f08b237, v22
	;; [unrolled: 1-line block ×3, first 2 shown]
	s_mov_b32 s8, 0xbf5ff5aa
	v_fmac_f32_e32 v10, 0xbf955555, v11
	v_fma_f32 v11, v16, s9, -v13
	v_fma_f32 v13, v17, s9, -v14
	s_mov_b32 s9, 0xbf3bfb3b
	v_mul_f32_e32 v22, 0xbf5ff5aa, v3
	v_mul_f32_e32 v23, 0xbf5ff5aa, v4
	v_fma_f32 v14, v16, s9, -v7
	v_fmac_f32_e32 v7, 0x3d64c772, v6
	v_fma_f32 v6, v17, s9, -v12
	v_fmac_f32_e32 v12, 0x3d64c772, v15
	v_fma_f32 v15, v3, s8, -v19
	v_fma_f32 v16, v4, s8, -v18
	s_mov_b32 s8, 0x3eae86e6
	v_fmac_f32_e32 v19, 0xbeae86e6, v9
	v_fmac_f32_e32 v18, 0xbeae86e6, v8
	v_fma_f32 v17, v9, s8, -v22
	v_fma_f32 v22, v8, s8, -v23
	v_add_f32_e32 v23, v7, v24
	v_add_f32_e32 v12, v12, v10
	;; [unrolled: 1-line block ×6, first 2 shown]
	v_fmac_f32_e32 v19, 0xbee1c552, v5
	v_fmac_f32_e32 v18, 0xbee1c552, v2
	;; [unrolled: 1-line block ×6, first 2 shown]
	v_add_f32_e32 v2, v18, v23
	v_sub_f32_e32 v3, v12, v19
	v_add_f32_e32 v4, v22, v11
	v_sub_f32_e32 v5, v13, v17
	v_sub_f32_e32 v6, v8, v16
	v_add_f32_e32 v7, v15, v9
	v_add_f32_e32 v8, v16, v8
	v_sub_f32_e32 v9, v9, v15
	v_sub_f32_e32 v10, v11, v22
	v_add_f32_e32 v11, v17, v13
	v_sub_f32_e32 v18, v23, v18
	v_add_f32_e32 v19, v19, v12
	s_barrier
	ds_write2_b64 v54, v[0:1], v[2:3] offset1:11
	ds_write2_b64 v54, v[4:5], v[6:7] offset0:22 offset1:33
	ds_write2_b64 v54, v[8:9], v[10:11] offset0:44 offset1:55
	ds_write_b64 v54, v[18:19] offset:528
	s_waitcnt lgkmcnt(0)
	s_barrier
	ds_read2_b64 v[4:7], v52 offset1:22
	ds_read2_b64 v[0:3], v52 offset0:44 offset1:77
	ds_read2_b64 v[8:11], v52 offset0:99 offset1:121
	v_add_u32_e32 v12, 0x160, v55
	s_and_saveexec_b64 s[8:9], s[2:3]
	s_cbranch_execz .LBB0_19
; %bb.18:
	ds_read2_b64 v[18:21], v52 offset0:66 offset1:143
.LBB0_19:
	s_or_b64 exec, exec, s[8:9]
	s_waitcnt lgkmcnt(1)
	v_mul_f32_e32 v13, v42, v3
	v_fmac_f32_e32 v13, v41, v2
	v_mul_f32_e32 v2, v42, v2
	v_fma_f32 v3, v41, v3, -v2
	s_waitcnt lgkmcnt(0)
	v_mul_f32_e32 v14, v44, v9
	v_mul_f32_e32 v2, v44, v8
	v_fmac_f32_e32 v14, v43, v8
	v_fma_f32 v9, v43, v9, -v2
	v_mul_f32_e32 v15, v46, v11
	v_mul_f32_e32 v2, v46, v10
	v_fmac_f32_e32 v15, v45, v10
	v_fma_f32 v11, v45, v11, -v2
	v_sub_f32_e32 v2, v4, v13
	v_sub_f32_e32 v3, v5, v3
	;; [unrolled: 1-line block ×4, first 2 shown]
	v_fma_f32 v4, v4, 2.0, -v2
	v_fma_f32 v5, v5, 2.0, -v3
	;; [unrolled: 1-line block ×4, first 2 shown]
	v_sub_f32_e32 v10, v0, v15
	v_sub_f32_e32 v11, v1, v11
	v_fma_f32 v0, v0, 2.0, -v10
	v_fma_f32 v1, v1, 2.0, -v11
	ds_write2_b64 v53, v[4:5], v[6:7] offset1:22
	ds_write_b64 v53, v[8:9] offset:792
	ds_write2_b64 v53, v[0:1], v[2:3] offset0:44 offset1:77
	ds_write_b64 v12, v[10:11] offset:616
	s_and_saveexec_b64 s[8:9], s[2:3]
	s_cbranch_execz .LBB0_21
; %bb.20:
	v_mul_f32_e32 v0, v40, v20
	v_fma_f32 v0, v39, v21, -v0
	v_sub_f32_e32 v1, v19, v0
	v_mul_f32_e32 v0, v40, v21
	v_fmac_f32_e32 v0, v39, v20
	v_sub_f32_e32 v0, v18, v0
	v_fma_f32 v3, v19, 2.0, -v1
	v_fma_f32 v2, v18, 2.0, -v0
	ds_write2_b64 v53, v[2:3], v[0:1] offset0:66 offset1:143
.LBB0_21:
	s_or_b64 exec, exec, s[8:9]
	s_waitcnt lgkmcnt(0)
	s_barrier
	s_and_b64 exec, exec, s[0:1]
	s_cbranch_execz .LBB0_23
; %bb.22:
	global_load_dwordx2 v[8:9], v48, s[12:13]
	global_load_dwordx2 v[10:11], v48, s[12:13] offset:112
	global_load_dwordx2 v[12:13], v48, s[12:13] offset:224
	global_load_dwordx2 v[14:15], v48, s[12:13] offset:336
	global_load_dwordx2 v[16:17], v48, s[12:13] offset:448
	ds_read_b64 v[20:21], v53
	global_load_dwordx2 v[24:25], v48, s[12:13] offset:560
	global_load_dwordx2 v[26:27], v48, s[12:13] offset:672
	;; [unrolled: 1-line block ×4, first 2 shown]
	v_mad_u64_u32 v[18:19], s[0:1], s6, v36, 0
	v_mad_u64_u32 v[22:23], s[2:3], s4, v47, 0
	s_mul_i32 s3, s5, 0x70
	s_mul_hi_u32 s6, s4, 0x70
	s_add_i32 s3, s6, s3
	s_waitcnt lgkmcnt(0)
	v_mad_u64_u32 v[32:33], s[6:7], s7, v36, v[19:20]
	v_mov_b32_e32 v35, s15
	v_lshl_add_u32 v37, v49, 3, v48
	v_mov_b32_e32 v19, v32
	v_lshlrev_b64 v[18:19], 3, v[18:19]
	s_mul_i32 s2, s4, 0x70
	v_add_co_u32_e32 v39, vcc, s14, v18
	v_addc_co_u32_e32 v40, vcc, v35, v19, vcc
	ds_read2_b64 v[0:3], v37 offset0:14 offset1:28
	ds_read2_b64 v[4:7], v37 offset0:42 offset1:56
	v_mov_b32_e32 v38, s3
	s_mov_b32 s0, 0x606a63be
	s_mov_b32 s1, 0x3f7a98ef
	v_mov_b32_e32 v36, s3
	s_waitcnt vmcnt(7) lgkmcnt(1)
	v_mul_f32_e32 v35, v1, v11
	v_mul_f32_e32 v11, v0, v11
	s_waitcnt vmcnt(3)
	v_mad_u64_u32 v[33:34], s[6:7], s5, v47, v[23:24]
	v_mov_b32_e32 v34, s3
	s_waitcnt lgkmcnt(0)
	v_mul_f32_e32 v41, v5, v15
	v_mov_b32_e32 v23, v33
	v_lshlrev_b64 v[22:23], 3, v[22:23]
	v_mul_f32_e32 v15, v4, v15
	v_add_co_u32_e32 v18, vcc, v39, v22
	v_addc_co_u32_e32 v19, vcc, v40, v23, vcc
	v_add_co_u32_e32 v22, vcc, s2, v18
	v_addc_co_u32_e32 v23, vcc, v19, v38, vcc
	;; [unrolled: 2-line block ×3, first 2 shown]
	v_mul_f32_e32 v34, v21, v9
	v_mul_f32_e32 v9, v20, v9
	;; [unrolled: 1-line block ×4, first 2 shown]
	v_fmac_f32_e32 v34, v20, v8
	v_fma_f32 v8, v8, v21, -v9
	v_fmac_f32_e32 v35, v0, v10
	v_fma_f32 v9, v10, v1, -v11
	;; [unrolled: 2-line block ×3, first 2 shown]
	v_cvt_f64_f32_e32 v[0:1], v34
	v_cvt_f64_f32_e32 v[2:3], v8
	v_fmac_f32_e32 v41, v4, v14
	v_fma_f32 v20, v14, v5, -v15
	v_cvt_f64_f32_e32 v[4:5], v35
	v_cvt_f64_f32_e32 v[8:9], v9
	;; [unrolled: 1-line block ×4, first 2 shown]
	v_mul_f64 v[0:1], v[0:1], s[0:1]
	v_mul_f64 v[2:3], v[2:3], s[0:1]
	;; [unrolled: 1-line block ×6, first 2 shown]
	v_cvt_f64_f32_e32 v[14:15], v41
	v_cvt_f64_f32_e32 v[20:21], v20
	v_mul_f32_e32 v42, v7, v17
	v_cvt_f32_f64_e32 v0, v[0:1]
	v_mul_f64 v[14:15], v[14:15], s[0:1]
	v_mul_f64 v[20:21], v[20:21], s[0:1]
	v_cvt_f32_f64_e32 v1, v[2:3]
	v_fmac_f32_e32 v42, v6, v16
	v_cvt_f32_f64_e32 v2, v[4:5]
	v_cvt_f32_f64_e32 v3, v[8:9]
	v_cvt_f64_f32_e32 v[34:35], v42
	v_cvt_f32_f64_e32 v4, v[10:11]
	v_cvt_f32_f64_e32 v5, v[12:13]
	global_store_dwordx2 v[18:19], v[0:1], off
	global_store_dwordx2 v[22:23], v[2:3], off
	;; [unrolled: 1-line block ×3, first 2 shown]
	v_mul_f32_e32 v0, v6, v17
	v_fma_f32 v0, v16, v7, -v0
	v_mul_f64 v[10:11], v[34:35], s[0:1]
	v_cvt_f64_f32_e32 v[6:7], v0
	ds_read2_b64 v[0:3], v37 offset0:70 offset1:84
	v_cvt_f32_f64_e32 v8, v[14:15]
	v_cvt_f32_f64_e32 v9, v[20:21]
	v_add_co_u32_e32 v4, vcc, s2, v32
	v_mul_f64 v[6:7], v[6:7], s[0:1]
	v_addc_co_u32_e32 v5, vcc, v33, v36, vcc
	global_load_dwordx2 v[12:13], v48, s[12:13] offset:1008
	v_mov_b32_e32 v14, s3
	global_store_dwordx2 v[4:5], v[8:9], off
	s_waitcnt lgkmcnt(0)
	v_mul_f32_e32 v9, v1, v25
	v_fmac_f32_e32 v9, v0, v24
	v_cvt_f32_f64_e32 v8, v[10:11]
	v_cvt_f64_f32_e32 v[10:11], v9
	v_cvt_f32_f64_e32 v9, v[6:7]
	v_mul_f32_e32 v0, v0, v25
	v_fma_f32 v0, v24, v1, -v0
	v_mul_f64 v[6:7], v[10:11], s[0:1]
	global_load_dwordx2 v[10:11], v48, s[12:13] offset:1120
	v_cvt_f64_f32_e32 v[0:1], v0
	v_add_co_u32_e32 v4, vcc, s2, v4
	v_addc_co_u32_e32 v5, vcc, v5, v14, vcc
	v_mul_f64 v[0:1], v[0:1], s[0:1]
	v_cvt_f32_f64_e32 v6, v[6:7]
	global_store_dwordx2 v[4:5], v[8:9], off
	v_mov_b32_e32 v16, s3
	v_add_co_u32_e32 v4, vcc, s2, v4
	v_addc_co_u32_e32 v5, vcc, v5, v16, vcc
	v_cvt_f32_f64_e32 v7, v[0:1]
	s_waitcnt vmcnt(9)
	v_mul_f32_e32 v0, v3, v27
	v_fmac_f32_e32 v0, v2, v26
	v_cvt_f64_f32_e32 v[8:9], v0
	v_mul_f32_e32 v0, v2, v27
	v_fma_f32 v0, v26, v3, -v0
	v_cvt_f64_f32_e32 v[14:15], v0
	ds_read2_b64 v[0:3], v37 offset0:98 offset1:112
	global_store_dwordx2 v[4:5], v[6:7], off
	v_mul_f64 v[6:7], v[8:9], s[0:1]
	v_mul_f64 v[8:9], v[14:15], s[0:1]
	v_add_co_u32_e32 v4, vcc, s2, v4
	s_waitcnt vmcnt(9) lgkmcnt(0)
	v_mul_f32_e32 v14, v1, v29
	v_fmac_f32_e32 v14, v0, v28
	v_mul_f32_e32 v0, v0, v29
	v_fma_f32 v0, v28, v1, -v0
	v_cvt_f64_f32_e32 v[0:1], v0
	v_cvt_f64_f32_e32 v[14:15], v14
	v_cvt_f32_f64_e32 v6, v[6:7]
	v_cvt_f32_f64_e32 v7, v[8:9]
	v_mul_f64 v[0:1], v[0:1], s[0:1]
	v_mul_f64 v[8:9], v[14:15], s[0:1]
	v_mov_b32_e32 v14, s3
	v_addc_co_u32_e32 v5, vcc, v5, v14, vcc
	global_store_dwordx2 v[4:5], v[6:7], off
	v_or_b32_e32 v19, 0x70, v47
	v_mad_u64_u32 v[16:17], s[6:7], s4, v19, 0
	v_cvt_f32_f64_e32 v7, v[0:1]
	s_waitcnt vmcnt(9)
	v_mul_f32_e32 v0, v3, v31
	v_fmac_f32_e32 v0, v2, v30
	v_mul_f32_e32 v2, v2, v31
	v_fma_f32 v2, v30, v3, -v2
	v_cvt_f64_f32_e32 v[0:1], v0
	v_cvt_f64_f32_e32 v[2:3], v2
	v_cvt_f32_f64_e32 v6, v[8:9]
	v_mov_b32_e32 v18, s3
	v_add_co_u32_e32 v4, vcc, s2, v4
	v_mul_f64 v[8:9], v[0:1], s[0:1]
	v_mul_f64 v[14:15], v[2:3], s[0:1]
	v_addc_co_u32_e32 v5, vcc, v5, v18, vcc
	v_mov_b32_e32 v0, v17
	global_store_dwordx2 v[4:5], v[6:7], off
	v_mad_u64_u32 v[6:7], s[6:7], s5, v19, v[0:1]
	ds_read2_b64 v[0:3], v37 offset0:126 offset1:140
	v_cvt_f32_f64_e32 v7, v[8:9]
	v_mov_b32_e32 v17, v6
	v_cvt_f32_f64_e32 v8, v[14:15]
	v_lshlrev_b64 v[14:15], 3, v[16:17]
	s_waitcnt vmcnt(6) lgkmcnt(0)
	v_mul_f32_e32 v6, v1, v13
	v_fmac_f32_e32 v6, v0, v12
	v_cvt_f64_f32_e32 v[16:17], v6
	v_mul_f32_e32 v0, v0, v13
	v_fma_f32 v0, v12, v1, -v0
	v_add_co_u32_e32 v12, vcc, v39, v14
	v_addc_co_u32_e32 v13, vcc, v40, v15, vcc
	v_mul_f64 v[14:15], v[16:17], s[0:1]
	v_cvt_f64_f32_e32 v[0:1], v0
	s_waitcnt vmcnt(4)
	v_mul_f32_e32 v6, v3, v11
	v_fmac_f32_e32 v6, v2, v10
	v_mul_f32_e32 v2, v2, v11
	v_fma_f32 v2, v10, v3, -v2
	v_cvt_f64_f32_e32 v[16:17], v6
	v_cvt_f64_f32_e32 v[2:3], v2
	v_mul_f64 v[0:1], v[0:1], s[0:1]
	v_cvt_f32_f64_e32 v9, v[14:15]
	v_mul_f64 v[14:15], v[16:17], s[0:1]
	v_mul_f64 v[2:3], v[2:3], s[0:1]
	v_mov_b32_e32 v6, 0xe0
	v_mad_u64_u32 v[4:5], s[0:1], s4, v6, v[4:5]
	s_mul_i32 s0, s5, 0xe0
	v_cvt_f32_f64_e32 v10, v[0:1]
	v_add_u32_e32 v5, s0, v5
	v_cvt_f32_f64_e32 v0, v[14:15]
	v_cvt_f32_f64_e32 v1, v[2:3]
	v_mov_b32_e32 v3, s3
	v_add_co_u32_e32 v2, vcc, s2, v4
	v_addc_co_u32_e32 v3, vcc, v5, v3, vcc
	global_store_dwordx2 v[12:13], v[7:8], off
	global_store_dwordx2 v[4:5], v[9:10], off
	;; [unrolled: 1-line block ×3, first 2 shown]
.LBB0_23:
	s_endpgm
	.section	.rodata,"a",@progbits
	.p2align	6, 0x0
	.amdhsa_kernel bluestein_single_fwd_len154_dim1_sp_op_CI_CI
		.amdhsa_group_segment_fixed_size 6160
		.amdhsa_private_segment_fixed_size 0
		.amdhsa_kernarg_size 104
		.amdhsa_user_sgpr_count 6
		.amdhsa_user_sgpr_private_segment_buffer 1
		.amdhsa_user_sgpr_dispatch_ptr 0
		.amdhsa_user_sgpr_queue_ptr 0
		.amdhsa_user_sgpr_kernarg_segment_ptr 1
		.amdhsa_user_sgpr_dispatch_id 0
		.amdhsa_user_sgpr_flat_scratch_init 0
		.amdhsa_user_sgpr_private_segment_size 0
		.amdhsa_uses_dynamic_stack 0
		.amdhsa_system_sgpr_private_segment_wavefront_offset 0
		.amdhsa_system_sgpr_workgroup_id_x 1
		.amdhsa_system_sgpr_workgroup_id_y 0
		.amdhsa_system_sgpr_workgroup_id_z 0
		.amdhsa_system_sgpr_workgroup_info 0
		.amdhsa_system_vgpr_workitem_id 0
		.amdhsa_next_free_vgpr 128
		.amdhsa_next_free_sgpr 19
		.amdhsa_reserve_vcc 1
		.amdhsa_reserve_flat_scratch 0
		.amdhsa_float_round_mode_32 0
		.amdhsa_float_round_mode_16_64 0
		.amdhsa_float_denorm_mode_32 3
		.amdhsa_float_denorm_mode_16_64 3
		.amdhsa_dx10_clamp 1
		.amdhsa_ieee_mode 1
		.amdhsa_fp16_overflow 0
		.amdhsa_exception_fp_ieee_invalid_op 0
		.amdhsa_exception_fp_denorm_src 0
		.amdhsa_exception_fp_ieee_div_zero 0
		.amdhsa_exception_fp_ieee_overflow 0
		.amdhsa_exception_fp_ieee_underflow 0
		.amdhsa_exception_fp_ieee_inexact 0
		.amdhsa_exception_int_div_zero 0
	.end_amdhsa_kernel
	.text
.Lfunc_end0:
	.size	bluestein_single_fwd_len154_dim1_sp_op_CI_CI, .Lfunc_end0-bluestein_single_fwd_len154_dim1_sp_op_CI_CI
                                        ; -- End function
	.section	.AMDGPU.csdata,"",@progbits
; Kernel info:
; codeLenInByte = 9116
; NumSgprs: 23
; NumVgprs: 128
; ScratchSize: 0
; MemoryBound: 0
; FloatMode: 240
; IeeeMode: 1
; LDSByteSize: 6160 bytes/workgroup (compile time only)
; SGPRBlocks: 2
; VGPRBlocks: 31
; NumSGPRsForWavesPerEU: 23
; NumVGPRsForWavesPerEU: 128
; Occupancy: 2
; WaveLimiterHint : 1
; COMPUTE_PGM_RSRC2:SCRATCH_EN: 0
; COMPUTE_PGM_RSRC2:USER_SGPR: 6
; COMPUTE_PGM_RSRC2:TRAP_HANDLER: 0
; COMPUTE_PGM_RSRC2:TGID_X_EN: 1
; COMPUTE_PGM_RSRC2:TGID_Y_EN: 0
; COMPUTE_PGM_RSRC2:TGID_Z_EN: 0
; COMPUTE_PGM_RSRC2:TIDIG_COMP_CNT: 0
	.type	__hip_cuid_31d54933d2682da8,@object ; @__hip_cuid_31d54933d2682da8
	.section	.bss,"aw",@nobits
	.globl	__hip_cuid_31d54933d2682da8
__hip_cuid_31d54933d2682da8:
	.byte	0                               ; 0x0
	.size	__hip_cuid_31d54933d2682da8, 1

	.ident	"AMD clang version 19.0.0git (https://github.com/RadeonOpenCompute/llvm-project roc-6.4.0 25133 c7fe45cf4b819c5991fe208aaa96edf142730f1d)"
	.section	".note.GNU-stack","",@progbits
	.addrsig
	.addrsig_sym __hip_cuid_31d54933d2682da8
	.amdgpu_metadata
---
amdhsa.kernels:
  - .args:
      - .actual_access:  read_only
        .address_space:  global
        .offset:         0
        .size:           8
        .value_kind:     global_buffer
      - .actual_access:  read_only
        .address_space:  global
        .offset:         8
        .size:           8
        .value_kind:     global_buffer
      - .actual_access:  read_only
        .address_space:  global
        .offset:         16
        .size:           8
        .value_kind:     global_buffer
      - .actual_access:  read_only
        .address_space:  global
        .offset:         24
        .size:           8
        .value_kind:     global_buffer
      - .actual_access:  read_only
        .address_space:  global
        .offset:         32
        .size:           8
        .value_kind:     global_buffer
      - .offset:         40
        .size:           8
        .value_kind:     by_value
      - .address_space:  global
        .offset:         48
        .size:           8
        .value_kind:     global_buffer
      - .address_space:  global
        .offset:         56
        .size:           8
        .value_kind:     global_buffer
      - .address_space:  global
        .offset:         64
        .size:           8
        .value_kind:     global_buffer
      - .address_space:  global
        .offset:         72
        .size:           8
        .value_kind:     global_buffer
      - .offset:         80
        .size:           4
        .value_kind:     by_value
      - .address_space:  global
        .offset:         88
        .size:           8
        .value_kind:     global_buffer
      - .address_space:  global
        .offset:         96
        .size:           8
        .value_kind:     global_buffer
    .group_segment_fixed_size: 6160
    .kernarg_segment_align: 8
    .kernarg_segment_size: 104
    .language:       OpenCL C
    .language_version:
      - 2
      - 0
    .max_flat_workgroup_size: 110
    .name:           bluestein_single_fwd_len154_dim1_sp_op_CI_CI
    .private_segment_fixed_size: 0
    .sgpr_count:     23
    .sgpr_spill_count: 0
    .symbol:         bluestein_single_fwd_len154_dim1_sp_op_CI_CI.kd
    .uniform_work_group_size: 1
    .uses_dynamic_stack: false
    .vgpr_count:     128
    .vgpr_spill_count: 0
    .wavefront_size: 64
amdhsa.target:   amdgcn-amd-amdhsa--gfx906
amdhsa.version:
  - 1
  - 2
...

	.end_amdgpu_metadata
